;; amdgpu-corpus repo=zjin-lcf/HeCBench kind=compiled arch=gfx1030 opt=O3
	.amdgcn_target "amdgcn-amd-amdhsa--gfx1030"
	.amdhsa_code_object_version 6
	.section	.text._Z19uniform_fill_kernelIfEvPT_mffj,"axG",@progbits,_Z19uniform_fill_kernelIfEvPT_mffj,comdat
	.protected	_Z19uniform_fill_kernelIfEvPT_mffj ; -- Begin function _Z19uniform_fill_kernelIfEvPT_mffj
	.globl	_Z19uniform_fill_kernelIfEvPT_mffj
	.p2align	8
	.type	_Z19uniform_fill_kernelIfEvPT_mffj,@function
_Z19uniform_fill_kernelIfEvPT_mffj:     ; @_Z19uniform_fill_kernelIfEvPT_mffj
; %bb.0:
	s_clause 0x1
	s_load_dword s7, s[4:5], 0x2c
	s_load_dwordx4 s[0:3], s[4:5], 0x0
	v_mov_b32_e32 v1, 0
	s_waitcnt lgkmcnt(0)
	s_and_b32 s7, s7, 0xffff
	v_mad_u64_u32 v[0:1], null, s7, s6, v[0:1]
	v_cmp_gt_u64_e32 vcc_lo, s[2:3], v[0:1]
	s_and_saveexec_b32 s2, vcc_lo
	s_cbranch_execz .LBB0_2
; %bb.1:
	s_load_dwordx4 s[4:7], s[4:5], 0x10
	s_waitcnt lgkmcnt(0)
	v_xor_b32_e32 v2, s6, v0
	v_lshlrev_b64 v[0:1], 2, v[0:1]
	v_lshlrev_b32_e32 v3, 13, v2
	v_add_co_u32 v0, vcc_lo, s0, v0
	v_add_co_ci_u32_e64 v1, null, s1, v1, vcc_lo
	v_xor_b32_e32 v2, v3, v2
	v_lshrrev_b32_e32 v3, 17, v2
	v_xor_b32_e32 v2, v3, v2
	v_lshlrev_b32_e32 v3, 5, v2
	v_xor_b32_e32 v2, v3, v2
	v_sub_f32_e64 v3, s5, s4
	v_lshrrev_b32_e32 v2, 8, v2
	v_cvt_f32_u32_e32 v2, v2
	v_mul_f32_e32 v2, 0x33800000, v2
	v_fma_f32 v2, v3, v2, s4
	global_store_dword v[0:1], v2, off
.LBB0_2:
	s_endpgm
	.section	.rodata,"a",@progbits
	.p2align	6, 0x0
	.amdhsa_kernel _Z19uniform_fill_kernelIfEvPT_mffj
		.amdhsa_group_segment_fixed_size 0
		.amdhsa_private_segment_fixed_size 0
		.amdhsa_kernarg_size 288
		.amdhsa_user_sgpr_count 6
		.amdhsa_user_sgpr_private_segment_buffer 1
		.amdhsa_user_sgpr_dispatch_ptr 0
		.amdhsa_user_sgpr_queue_ptr 0
		.amdhsa_user_sgpr_kernarg_segment_ptr 1
		.amdhsa_user_sgpr_dispatch_id 0
		.amdhsa_user_sgpr_flat_scratch_init 0
		.amdhsa_user_sgpr_private_segment_size 0
		.amdhsa_wavefront_size32 1
		.amdhsa_uses_dynamic_stack 0
		.amdhsa_system_sgpr_private_segment_wavefront_offset 0
		.amdhsa_system_sgpr_workgroup_id_x 1
		.amdhsa_system_sgpr_workgroup_id_y 0
		.amdhsa_system_sgpr_workgroup_id_z 0
		.amdhsa_system_sgpr_workgroup_info 0
		.amdhsa_system_vgpr_workitem_id 0
		.amdhsa_next_free_vgpr 4
		.amdhsa_next_free_sgpr 8
		.amdhsa_reserve_vcc 1
		.amdhsa_reserve_flat_scratch 0
		.amdhsa_float_round_mode_32 0
		.amdhsa_float_round_mode_16_64 0
		.amdhsa_float_denorm_mode_32 3
		.amdhsa_float_denorm_mode_16_64 3
		.amdhsa_dx10_clamp 1
		.amdhsa_ieee_mode 1
		.amdhsa_fp16_overflow 0
		.amdhsa_workgroup_processor_mode 1
		.amdhsa_memory_ordered 1
		.amdhsa_forward_progress 1
		.amdhsa_shared_vgpr_count 0
		.amdhsa_exception_fp_ieee_invalid_op 0
		.amdhsa_exception_fp_denorm_src 0
		.amdhsa_exception_fp_ieee_div_zero 0
		.amdhsa_exception_fp_ieee_overflow 0
		.amdhsa_exception_fp_ieee_underflow 0
		.amdhsa_exception_fp_ieee_inexact 0
		.amdhsa_exception_int_div_zero 0
	.end_amdhsa_kernel
	.section	.text._Z19uniform_fill_kernelIfEvPT_mffj,"axG",@progbits,_Z19uniform_fill_kernelIfEvPT_mffj,comdat
.Lfunc_end0:
	.size	_Z19uniform_fill_kernelIfEvPT_mffj, .Lfunc_end0-_Z19uniform_fill_kernelIfEvPT_mffj
                                        ; -- End function
	.set _Z19uniform_fill_kernelIfEvPT_mffj.num_vgpr, 4
	.set _Z19uniform_fill_kernelIfEvPT_mffj.num_agpr, 0
	.set _Z19uniform_fill_kernelIfEvPT_mffj.numbered_sgpr, 8
	.set _Z19uniform_fill_kernelIfEvPT_mffj.num_named_barrier, 0
	.set _Z19uniform_fill_kernelIfEvPT_mffj.private_seg_size, 0
	.set _Z19uniform_fill_kernelIfEvPT_mffj.uses_vcc, 1
	.set _Z19uniform_fill_kernelIfEvPT_mffj.uses_flat_scratch, 0
	.set _Z19uniform_fill_kernelIfEvPT_mffj.has_dyn_sized_stack, 0
	.set _Z19uniform_fill_kernelIfEvPT_mffj.has_recursion, 0
	.set _Z19uniform_fill_kernelIfEvPT_mffj.has_indirect_call, 0
	.section	.AMDGPU.csdata,"",@progbits
; Kernel info:
; codeLenInByte = 164
; TotalNumSgprs: 10
; NumVgprs: 4
; ScratchSize: 0
; MemoryBound: 0
; FloatMode: 240
; IeeeMode: 1
; LDSByteSize: 0 bytes/workgroup (compile time only)
; SGPRBlocks: 0
; VGPRBlocks: 0
; NumSGPRsForWavesPerEU: 10
; NumVGPRsForWavesPerEU: 4
; Occupancy: 16
; WaveLimiterHint : 0
; COMPUTE_PGM_RSRC2:SCRATCH_EN: 0
; COMPUTE_PGM_RSRC2:USER_SGPR: 6
; COMPUTE_PGM_RSRC2:TRAP_HANDLER: 0
; COMPUTE_PGM_RSRC2:TGID_X_EN: 1
; COMPUTE_PGM_RSRC2:TGID_Y_EN: 0
; COMPUTE_PGM_RSRC2:TGID_Z_EN: 0
; COMPUTE_PGM_RSRC2:TIDIG_COMP_CNT: 0
	.section	.text._Z24merge_attn_states_kernelIfLj128EEvPT_PKS0_S3_PfPKfS6_jjj,"axG",@progbits,_Z24merge_attn_states_kernelIfLj128EEvPT_PKS0_S3_PfPKfS6_jjj,comdat
	.protected	_Z24merge_attn_states_kernelIfLj128EEvPT_PKS0_S3_PfPKfS6_jjj ; -- Begin function _Z24merge_attn_states_kernelIfLj128EEvPT_PKS0_S3_PfPKfS6_jjj
	.globl	_Z24merge_attn_states_kernelIfLj128EEvPT_PKS0_S3_PfPKfS6_jjj
	.p2align	8
	.type	_Z24merge_attn_states_kernelIfLj128EEvPT_PKS0_S3_PfPKfS6_jjj,@function
_Z24merge_attn_states_kernelIfLj128EEvPT_PKS0_S3_PfPKfS6_jjj: ; @_Z24merge_attn_states_kernelIfLj128EEvPT_PKS0_S3_PfPKfS6_jjj
; %bb.0:
	s_load_dwordx4 s[0:3], s[4:5], 0x30
	v_lshl_add_u32 v2, s6, 7, v0
	s_waitcnt lgkmcnt(0)
	s_lshr_b32 s3, s2, 2
	s_mul_i32 s0, s1, s0
	s_mul_i32 s0, s0, s3
	v_cmp_gt_u32_e32 vcc_lo, s0, v2
	s_and_saveexec_b32 s0, vcc_lo
	s_cbranch_execz .LBB1_5
; %bb.1:
	v_cvt_f32_u32_e32 v0, s3
	s_sub_i32 s0, 0, s3
	v_mov_b32_e32 v5, 0
	v_rcp_iflag_f32_e32 v0, v0
	v_mul_f32_e32 v0, 0x4f7ffffe, v0
	v_cvt_u32_f32_e32 v0, v0
	v_mul_lo_u32 v1, s0, v0
	s_clause 0x1
	s_load_dwordx2 s[0:1], s[4:5], 0x28
	s_load_dwordx4 s[8:11], s[4:5], 0x18
	v_mul_hi_u32 v1, v0, v1
	v_add_nc_u32_e32 v0, v0, v1
	v_mul_hi_u32 v0, v2, v0
	v_mul_lo_u32 v1, v0, s3
	v_add_nc_u32_e32 v3, 1, v0
	v_sub_nc_u32_e32 v1, v2, v1
	v_subrev_nc_u32_e32 v4, s3, v1
	v_cmp_le_u32_e32 vcc_lo, s3, v1
	v_cndmask_b32_e32 v0, v0, v3, vcc_lo
	v_cndmask_b32_e32 v1, v1, v4, vcc_lo
	v_add_nc_u32_e32 v3, 1, v0
	v_cmp_le_u32_e32 vcc_lo, s3, v1
	v_cndmask_b32_e32 v4, v0, v3, vcc_lo
	v_lshlrev_b64 v[0:1], 2, v[4:5]
	s_waitcnt lgkmcnt(0)
	v_add_co_u32 v6, vcc_lo, s0, v0
	v_add_co_ci_u32_e64 v7, null, s1, v1, vcc_lo
	v_add_co_u32 v8, vcc_lo, s10, v0
	v_add_co_ci_u32_e64 v9, null, s11, v1, vcc_lo
	global_load_dword v3, v[6:7], off
	global_load_dword v6, v[8:9], off
	s_mov_b32 s1, exec_lo
	s_waitcnt vmcnt(1)
	v_cmp_neq_f32_e64 vcc_lo, 0x7f800000, |v3|
	v_cndmask_b32_e32 v3, 0xff800000, v3, vcc_lo
	s_waitcnt vmcnt(0)
	v_cmp_neq_f32_e64 vcc_lo, 0x7f800000, |v6|
	v_cndmask_b32_e32 v7, 0xff800000, v6, vcc_lo
	v_max_f32_e32 v6, v3, v3
	v_max_f32_e32 v8, v7, v7
	;; [unrolled: 1-line block ×3, first 2 shown]
	v_sub_f32_e32 v7, v7, v6
	v_sub_f32_e32 v3, v3, v6
	v_mul_f32_e32 v8, 0x3fb8aa3b, v7
	v_mul_f32_e32 v9, 0x3fb8aa3b, v3
	v_cmp_ngt_f32_e32 vcc_lo, 0xc2ce8ed0, v7
	v_fma_f32 v10, 0x3fb8aa3b, v7, -v8
	v_rndne_f32_e32 v11, v8
	v_fma_f32 v12, 0x3fb8aa3b, v3, -v9
	v_rndne_f32_e32 v13, v9
	v_fmac_f32_e32 v10, 0x32a5705f, v7
	v_sub_f32_e32 v8, v8, v11
	v_fmac_f32_e32 v12, 0x32a5705f, v3
	v_sub_f32_e32 v9, v9, v13
	v_add_f32_e32 v8, v8, v10
	v_cvt_i32_f32_e32 v10, v11
	v_add_f32_e32 v9, v9, v12
	v_cvt_i32_f32_e32 v11, v13
	v_mul_lo_u32 v12, v4, s3
	v_exp_f32_e32 v8, v8
	v_exp_f32_e32 v9, v9
	v_sub_nc_u32_e32 v2, v2, v12
	v_ldexp_f32 v8, v8, v10
	v_ldexp_f32 v9, v9, v11
	v_cndmask_b32_e32 v8, 0, v8, vcc_lo
	v_cmp_ngt_f32_e32 vcc_lo, 0xc2ce8ed0, v3
	v_cndmask_b32_e32 v9, 0, v9, vcc_lo
	v_cmp_nlt_f32_e32 vcc_lo, 0x42b17218, v7
	v_cndmask_b32_e32 v8, 0x7f800000, v8, vcc_lo
	v_cmp_nlt_f32_e32 vcc_lo, 0x42b17218, v3
	v_lshlrev_b32_e32 v3, 2, v2
	v_cndmask_b32_e32 v9, 0x7f800000, v9, vcc_lo
	v_add_f32_e32 v7, v8, v9
	v_cmpx_gt_u32_e64 s2, v3
	s_cbranch_execz .LBB1_3
; %bb.2:
	s_load_dwordx2 s[10:11], s[4:5], 0x10
	v_mul_lo_u32 v4, v4, s2
	s_load_dwordx4 s[4:7], s[4:5], 0x0
	v_mov_b32_e32 v3, v5
	v_div_scale_f32 v20, null, v7, v7, v8
	v_lshlrev_b64 v[18:19], 4, v[2:3]
	v_lshlrev_b64 v[4:5], 2, v[4:5]
	v_rcp_f32_e32 v22, v20
	v_fma_f32 v24, -v20, v22, 1.0
	s_waitcnt lgkmcnt(0)
	v_add_co_u32 v3, vcc_lo, s10, v4
	v_add_co_ci_u32_e64 v11, null, s11, v5, vcc_lo
	v_fmac_f32_e32 v22, v24, v22
	v_add_co_u32 v10, vcc_lo, v3, v18
	v_add_co_ci_u32_e64 v11, null, v11, v19, vcc_lo
	v_add_co_u32 v3, vcc_lo, s6, v4
	v_add_co_ci_u32_e64 v15, null, s7, v5, vcc_lo
	global_load_dwordx4 v[10:13], v[10:11], off
	v_add_co_u32 v14, vcc_lo, v3, v18
	v_add_co_ci_u32_e64 v15, null, v15, v19, vcc_lo
	v_div_scale_f32 v3, null, v7, v7, v9
	v_div_scale_f32 v25, vcc_lo, v9, v7, v9
	global_load_dwordx4 v[14:17], v[14:15], off
	v_rcp_f32_e32 v21, v3
	v_fma_f32 v23, -v3, v21, 1.0
	v_fmac_f32_e32 v21, v23, v21
	v_div_scale_f32 v23, s0, v8, v7, v8
	v_mul_f32_e32 v24, v25, v21
	v_mul_f32_e32 v26, v23, v22
	v_fma_f32 v27, -v3, v24, v25
	v_fma_f32 v28, -v20, v26, v23
	v_fmac_f32_e32 v24, v27, v21
	v_fmac_f32_e32 v26, v28, v22
	v_fma_f32 v3, -v3, v24, v25
	v_fma_f32 v20, -v20, v26, v23
	v_div_fmas_f32 v3, v3, v21, v24
	s_mov_b32 vcc_lo, s0
	v_div_fmas_f32 v20, v20, v22, v26
	v_div_fixup_f32 v3, v3, v7, v9
	v_div_fixup_f32 v20, v20, v7, v8
	s_waitcnt vmcnt(1)
	v_mul_f32_e32 v8, v3, v10
	v_mul_f32_e32 v9, v3, v11
	;; [unrolled: 1-line block ×4, first 2 shown]
	v_add_co_u32 v3, vcc_lo, s4, v4
	v_add_co_ci_u32_e64 v4, null, s5, v5, vcc_lo
	v_add_co_u32 v3, vcc_lo, v3, v18
	s_waitcnt vmcnt(0)
	v_fmac_f32_e32 v8, v20, v14
	v_fmac_f32_e32 v9, v20, v15
	;; [unrolled: 1-line block ×4, first 2 shown]
	v_add_co_ci_u32_e64 v4, null, v4, v19, vcc_lo
	global_store_dwordx4 v[3:4], v[8:11], off
.LBB1_3:
	s_or_b32 exec_lo, exec_lo, s1
	v_cmp_eq_u32_e32 vcc_lo, 0, v2
	s_cmp_lg_u64 s[8:9], 0
	s_cselect_b32 s0, -1, 0
	s_and_b32 s0, s0, vcc_lo
	s_and_b32 exec_lo, exec_lo, s0
	s_cbranch_execz .LBB1_5
; %bb.4:
	v_cmp_gt_f32_e32 vcc_lo, 0x800000, v7
	v_cndmask_b32_e64 v2, 0, 32, vcc_lo
	v_ldexp_f32 v2, v7, v2
	v_log_f32_e32 v2, v2
	v_mul_f32_e32 v3, 0x3f317217, v2
	v_cmp_gt_f32_e64 s0, 0x7f800000, |v2|
	v_fma_f32 v3, 0x3f317217, v2, -v3
	v_fmamk_f32 v3, v2, 0x3377d1cf, v3
	v_fmac_f32_e32 v3, 0x3f317217, v2
	v_cndmask_b32_e64 v2, v2, v3, s0
	v_cndmask_b32_e64 v3, 0, 0x41b17218, vcc_lo
	v_add_co_u32 v0, vcc_lo, s8, v0
	v_add_co_ci_u32_e64 v1, null, s9, v1, vcc_lo
	v_sub_f32_e32 v2, v2, v3
	v_add_f32_e32 v2, v6, v2
	global_store_dword v[0:1], v2, off
.LBB1_5:
	s_endpgm
	.section	.rodata,"a",@progbits
	.p2align	6, 0x0
	.amdhsa_kernel _Z24merge_attn_states_kernelIfLj128EEvPT_PKS0_S3_PfPKfS6_jjj
		.amdhsa_group_segment_fixed_size 0
		.amdhsa_private_segment_fixed_size 0
		.amdhsa_kernarg_size 60
		.amdhsa_user_sgpr_count 6
		.amdhsa_user_sgpr_private_segment_buffer 1
		.amdhsa_user_sgpr_dispatch_ptr 0
		.amdhsa_user_sgpr_queue_ptr 0
		.amdhsa_user_sgpr_kernarg_segment_ptr 1
		.amdhsa_user_sgpr_dispatch_id 0
		.amdhsa_user_sgpr_flat_scratch_init 0
		.amdhsa_user_sgpr_private_segment_size 0
		.amdhsa_wavefront_size32 1
		.amdhsa_uses_dynamic_stack 0
		.amdhsa_system_sgpr_private_segment_wavefront_offset 0
		.amdhsa_system_sgpr_workgroup_id_x 1
		.amdhsa_system_sgpr_workgroup_id_y 0
		.amdhsa_system_sgpr_workgroup_id_z 0
		.amdhsa_system_sgpr_workgroup_info 0
		.amdhsa_system_vgpr_workitem_id 0
		.amdhsa_next_free_vgpr 29
		.amdhsa_next_free_sgpr 12
		.amdhsa_reserve_vcc 1
		.amdhsa_reserve_flat_scratch 0
		.amdhsa_float_round_mode_32 0
		.amdhsa_float_round_mode_16_64 0
		.amdhsa_float_denorm_mode_32 3
		.amdhsa_float_denorm_mode_16_64 3
		.amdhsa_dx10_clamp 1
		.amdhsa_ieee_mode 1
		.amdhsa_fp16_overflow 0
		.amdhsa_workgroup_processor_mode 1
		.amdhsa_memory_ordered 1
		.amdhsa_forward_progress 1
		.amdhsa_shared_vgpr_count 0
		.amdhsa_exception_fp_ieee_invalid_op 0
		.amdhsa_exception_fp_denorm_src 0
		.amdhsa_exception_fp_ieee_div_zero 0
		.amdhsa_exception_fp_ieee_overflow 0
		.amdhsa_exception_fp_ieee_underflow 0
		.amdhsa_exception_fp_ieee_inexact 0
		.amdhsa_exception_int_div_zero 0
	.end_amdhsa_kernel
	.section	.text._Z24merge_attn_states_kernelIfLj128EEvPT_PKS0_S3_PfPKfS6_jjj,"axG",@progbits,_Z24merge_attn_states_kernelIfLj128EEvPT_PKS0_S3_PfPKfS6_jjj,comdat
.Lfunc_end1:
	.size	_Z24merge_attn_states_kernelIfLj128EEvPT_PKS0_S3_PfPKfS6_jjj, .Lfunc_end1-_Z24merge_attn_states_kernelIfLj128EEvPT_PKS0_S3_PfPKfS6_jjj
                                        ; -- End function
	.set _Z24merge_attn_states_kernelIfLj128EEvPT_PKS0_S3_PfPKfS6_jjj.num_vgpr, 29
	.set _Z24merge_attn_states_kernelIfLj128EEvPT_PKS0_S3_PfPKfS6_jjj.num_agpr, 0
	.set _Z24merge_attn_states_kernelIfLj128EEvPT_PKS0_S3_PfPKfS6_jjj.numbered_sgpr, 12
	.set _Z24merge_attn_states_kernelIfLj128EEvPT_PKS0_S3_PfPKfS6_jjj.num_named_barrier, 0
	.set _Z24merge_attn_states_kernelIfLj128EEvPT_PKS0_S3_PfPKfS6_jjj.private_seg_size, 0
	.set _Z24merge_attn_states_kernelIfLj128EEvPT_PKS0_S3_PfPKfS6_jjj.uses_vcc, 1
	.set _Z24merge_attn_states_kernelIfLj128EEvPT_PKS0_S3_PfPKfS6_jjj.uses_flat_scratch, 0
	.set _Z24merge_attn_states_kernelIfLj128EEvPT_PKS0_S3_PfPKfS6_jjj.has_dyn_sized_stack, 0
	.set _Z24merge_attn_states_kernelIfLj128EEvPT_PKS0_S3_PfPKfS6_jjj.has_recursion, 0
	.set _Z24merge_attn_states_kernelIfLj128EEvPT_PKS0_S3_PfPKfS6_jjj.has_indirect_call, 0
	.section	.AMDGPU.csdata,"",@progbits
; Kernel info:
; codeLenInByte = 1012
; TotalNumSgprs: 14
; NumVgprs: 29
; ScratchSize: 0
; MemoryBound: 0
; FloatMode: 240
; IeeeMode: 1
; LDSByteSize: 0 bytes/workgroup (compile time only)
; SGPRBlocks: 0
; VGPRBlocks: 3
; NumSGPRsForWavesPerEU: 14
; NumVGPRsForWavesPerEU: 29
; Occupancy: 16
; WaveLimiterHint : 0
; COMPUTE_PGM_RSRC2:SCRATCH_EN: 0
; COMPUTE_PGM_RSRC2:USER_SGPR: 6
; COMPUTE_PGM_RSRC2:TRAP_HANDLER: 0
; COMPUTE_PGM_RSRC2:TGID_X_EN: 1
; COMPUTE_PGM_RSRC2:TGID_Y_EN: 0
; COMPUTE_PGM_RSRC2:TGID_Z_EN: 0
; COMPUTE_PGM_RSRC2:TIDIG_COMP_CNT: 0
	.section	.text._Z19uniform_fill_kernelI6__halfEvPT_mffj,"axG",@progbits,_Z19uniform_fill_kernelI6__halfEvPT_mffj,comdat
	.protected	_Z19uniform_fill_kernelI6__halfEvPT_mffj ; -- Begin function _Z19uniform_fill_kernelI6__halfEvPT_mffj
	.globl	_Z19uniform_fill_kernelI6__halfEvPT_mffj
	.p2align	8
	.type	_Z19uniform_fill_kernelI6__halfEvPT_mffj,@function
_Z19uniform_fill_kernelI6__halfEvPT_mffj: ; @_Z19uniform_fill_kernelI6__halfEvPT_mffj
; %bb.0:
	s_clause 0x1
	s_load_dword s7, s[4:5], 0x2c
	s_load_dwordx4 s[0:3], s[4:5], 0x0
	v_mov_b32_e32 v1, 0
	s_waitcnt lgkmcnt(0)
	s_and_b32 s7, s7, 0xffff
	v_mad_u64_u32 v[0:1], null, s7, s6, v[0:1]
	v_cmp_gt_u64_e32 vcc_lo, s[2:3], v[0:1]
	s_and_saveexec_b32 s2, vcc_lo
	s_cbranch_execz .LBB2_2
; %bb.1:
	s_load_dwordx4 s[4:7], s[4:5], 0x10
	s_waitcnt lgkmcnt(0)
	v_xor_b32_e32 v2, s6, v0
	v_lshlrev_b64 v[0:1], 1, v[0:1]
	v_lshlrev_b32_e32 v3, 13, v2
	v_add_co_u32 v0, vcc_lo, s0, v0
	v_add_co_ci_u32_e64 v1, null, s1, v1, vcc_lo
	v_xor_b32_e32 v2, v3, v2
	v_lshrrev_b32_e32 v3, 17, v2
	v_xor_b32_e32 v2, v3, v2
	v_lshlrev_b32_e32 v3, 5, v2
	v_xor_b32_e32 v2, v3, v2
	v_sub_f32_e64 v3, s5, s4
	v_lshrrev_b32_e32 v2, 8, v2
	v_cvt_f32_u32_e32 v2, v2
	v_mul_f32_e32 v2, 0x33800000, v2
	v_fma_mixlo_f16 v2, v3, v2, s4
	global_store_short v[0:1], v2, off
.LBB2_2:
	s_endpgm
	.section	.rodata,"a",@progbits
	.p2align	6, 0x0
	.amdhsa_kernel _Z19uniform_fill_kernelI6__halfEvPT_mffj
		.amdhsa_group_segment_fixed_size 0
		.amdhsa_private_segment_fixed_size 0
		.amdhsa_kernarg_size 288
		.amdhsa_user_sgpr_count 6
		.amdhsa_user_sgpr_private_segment_buffer 1
		.amdhsa_user_sgpr_dispatch_ptr 0
		.amdhsa_user_sgpr_queue_ptr 0
		.amdhsa_user_sgpr_kernarg_segment_ptr 1
		.amdhsa_user_sgpr_dispatch_id 0
		.amdhsa_user_sgpr_flat_scratch_init 0
		.amdhsa_user_sgpr_private_segment_size 0
		.amdhsa_wavefront_size32 1
		.amdhsa_uses_dynamic_stack 0
		.amdhsa_system_sgpr_private_segment_wavefront_offset 0
		.amdhsa_system_sgpr_workgroup_id_x 1
		.amdhsa_system_sgpr_workgroup_id_y 0
		.amdhsa_system_sgpr_workgroup_id_z 0
		.amdhsa_system_sgpr_workgroup_info 0
		.amdhsa_system_vgpr_workitem_id 0
		.amdhsa_next_free_vgpr 4
		.amdhsa_next_free_sgpr 8
		.amdhsa_reserve_vcc 1
		.amdhsa_reserve_flat_scratch 0
		.amdhsa_float_round_mode_32 0
		.amdhsa_float_round_mode_16_64 0
		.amdhsa_float_denorm_mode_32 3
		.amdhsa_float_denorm_mode_16_64 3
		.amdhsa_dx10_clamp 1
		.amdhsa_ieee_mode 1
		.amdhsa_fp16_overflow 0
		.amdhsa_workgroup_processor_mode 1
		.amdhsa_memory_ordered 1
		.amdhsa_forward_progress 1
		.amdhsa_shared_vgpr_count 0
		.amdhsa_exception_fp_ieee_invalid_op 0
		.amdhsa_exception_fp_denorm_src 0
		.amdhsa_exception_fp_ieee_div_zero 0
		.amdhsa_exception_fp_ieee_overflow 0
		.amdhsa_exception_fp_ieee_underflow 0
		.amdhsa_exception_fp_ieee_inexact 0
		.amdhsa_exception_int_div_zero 0
	.end_amdhsa_kernel
	.section	.text._Z19uniform_fill_kernelI6__halfEvPT_mffj,"axG",@progbits,_Z19uniform_fill_kernelI6__halfEvPT_mffj,comdat
.Lfunc_end2:
	.size	_Z19uniform_fill_kernelI6__halfEvPT_mffj, .Lfunc_end2-_Z19uniform_fill_kernelI6__halfEvPT_mffj
                                        ; -- End function
	.set _Z19uniform_fill_kernelI6__halfEvPT_mffj.num_vgpr, 4
	.set _Z19uniform_fill_kernelI6__halfEvPT_mffj.num_agpr, 0
	.set _Z19uniform_fill_kernelI6__halfEvPT_mffj.numbered_sgpr, 8
	.set _Z19uniform_fill_kernelI6__halfEvPT_mffj.num_named_barrier, 0
	.set _Z19uniform_fill_kernelI6__halfEvPT_mffj.private_seg_size, 0
	.set _Z19uniform_fill_kernelI6__halfEvPT_mffj.uses_vcc, 1
	.set _Z19uniform_fill_kernelI6__halfEvPT_mffj.uses_flat_scratch, 0
	.set _Z19uniform_fill_kernelI6__halfEvPT_mffj.has_dyn_sized_stack, 0
	.set _Z19uniform_fill_kernelI6__halfEvPT_mffj.has_recursion, 0
	.set _Z19uniform_fill_kernelI6__halfEvPT_mffj.has_indirect_call, 0
	.section	.AMDGPU.csdata,"",@progbits
; Kernel info:
; codeLenInByte = 164
; TotalNumSgprs: 10
; NumVgprs: 4
; ScratchSize: 0
; MemoryBound: 0
; FloatMode: 240
; IeeeMode: 1
; LDSByteSize: 0 bytes/workgroup (compile time only)
; SGPRBlocks: 0
; VGPRBlocks: 0
; NumSGPRsForWavesPerEU: 10
; NumVGPRsForWavesPerEU: 4
; Occupancy: 16
; WaveLimiterHint : 0
; COMPUTE_PGM_RSRC2:SCRATCH_EN: 0
; COMPUTE_PGM_RSRC2:USER_SGPR: 6
; COMPUTE_PGM_RSRC2:TRAP_HANDLER: 0
; COMPUTE_PGM_RSRC2:TGID_X_EN: 1
; COMPUTE_PGM_RSRC2:TGID_Y_EN: 0
; COMPUTE_PGM_RSRC2:TGID_Z_EN: 0
; COMPUTE_PGM_RSRC2:TIDIG_COMP_CNT: 0
	.section	.text._Z24merge_attn_states_kernelI6__halfLj128EEvPT_PKS1_S4_PfPKfS7_jjj,"axG",@progbits,_Z24merge_attn_states_kernelI6__halfLj128EEvPT_PKS1_S4_PfPKfS7_jjj,comdat
	.protected	_Z24merge_attn_states_kernelI6__halfLj128EEvPT_PKS1_S4_PfPKfS7_jjj ; -- Begin function _Z24merge_attn_states_kernelI6__halfLj128EEvPT_PKS1_S4_PfPKfS7_jjj
	.globl	_Z24merge_attn_states_kernelI6__halfLj128EEvPT_PKS1_S4_PfPKfS7_jjj
	.p2align	8
	.type	_Z24merge_attn_states_kernelI6__halfLj128EEvPT_PKS1_S4_PfPKfS7_jjj,@function
_Z24merge_attn_states_kernelI6__halfLj128EEvPT_PKS1_S4_PfPKfS7_jjj: ; @_Z24merge_attn_states_kernelI6__halfLj128EEvPT_PKS1_S4_PfPKfS7_jjj
; %bb.0:
	s_load_dwordx4 s[0:3], s[4:5], 0x30
	v_lshl_add_u32 v2, s6, 7, v0
	s_waitcnt lgkmcnt(0)
	s_lshr_b32 s3, s2, 3
	s_mul_i32 s0, s1, s0
	s_mul_i32 s0, s0, s3
	v_cmp_gt_u32_e32 vcc_lo, s0, v2
	s_and_saveexec_b32 s0, vcc_lo
	s_cbranch_execz .LBB3_5
; %bb.1:
	v_cvt_f32_u32_e32 v0, s3
	s_sub_i32 s0, 0, s3
	v_mov_b32_e32 v5, 0
	v_rcp_iflag_f32_e32 v0, v0
	v_mul_f32_e32 v0, 0x4f7ffffe, v0
	v_cvt_u32_f32_e32 v0, v0
	v_mul_lo_u32 v1, s0, v0
	s_clause 0x1
	s_load_dwordx2 s[0:1], s[4:5], 0x28
	s_load_dwordx4 s[8:11], s[4:5], 0x18
	v_mul_hi_u32 v1, v0, v1
	v_add_nc_u32_e32 v0, v0, v1
	v_mul_hi_u32 v0, v2, v0
	v_mul_lo_u32 v1, v0, s3
	v_add_nc_u32_e32 v3, 1, v0
	v_sub_nc_u32_e32 v1, v2, v1
	v_subrev_nc_u32_e32 v4, s3, v1
	v_cmp_le_u32_e32 vcc_lo, s3, v1
	v_cndmask_b32_e32 v0, v0, v3, vcc_lo
	v_cndmask_b32_e32 v1, v1, v4, vcc_lo
	v_add_nc_u32_e32 v3, 1, v0
	v_cmp_le_u32_e32 vcc_lo, s3, v1
	v_cndmask_b32_e32 v4, v0, v3, vcc_lo
	v_lshlrev_b64 v[0:1], 2, v[4:5]
	s_waitcnt lgkmcnt(0)
	v_add_co_u32 v6, vcc_lo, s0, v0
	v_add_co_ci_u32_e64 v7, null, s1, v1, vcc_lo
	v_add_co_u32 v8, vcc_lo, s10, v0
	v_add_co_ci_u32_e64 v9, null, s11, v1, vcc_lo
	global_load_dword v3, v[6:7], off
	global_load_dword v6, v[8:9], off
	s_mov_b32 s1, exec_lo
	s_waitcnt vmcnt(1)
	v_cmp_neq_f32_e64 vcc_lo, 0x7f800000, |v3|
	v_cndmask_b32_e32 v3, 0xff800000, v3, vcc_lo
	s_waitcnt vmcnt(0)
	v_cmp_neq_f32_e64 vcc_lo, 0x7f800000, |v6|
	v_cndmask_b32_e32 v7, 0xff800000, v6, vcc_lo
	v_max_f32_e32 v6, v3, v3
	v_max_f32_e32 v8, v7, v7
	;; [unrolled: 1-line block ×3, first 2 shown]
	v_sub_f32_e32 v7, v7, v6
	v_sub_f32_e32 v3, v3, v6
	v_mul_f32_e32 v8, 0x3fb8aa3b, v7
	v_mul_f32_e32 v9, 0x3fb8aa3b, v3
	v_cmp_ngt_f32_e32 vcc_lo, 0xc2ce8ed0, v7
	v_fma_f32 v10, 0x3fb8aa3b, v7, -v8
	v_rndne_f32_e32 v11, v8
	v_fma_f32 v12, 0x3fb8aa3b, v3, -v9
	v_rndne_f32_e32 v13, v9
	v_fmac_f32_e32 v10, 0x32a5705f, v7
	v_sub_f32_e32 v8, v8, v11
	v_fmac_f32_e32 v12, 0x32a5705f, v3
	v_sub_f32_e32 v9, v9, v13
	v_add_f32_e32 v8, v8, v10
	v_cvt_i32_f32_e32 v10, v11
	v_add_f32_e32 v9, v9, v12
	v_cvt_i32_f32_e32 v11, v13
	v_mul_lo_u32 v12, v4, s3
	v_exp_f32_e32 v8, v8
	v_exp_f32_e32 v9, v9
	v_sub_nc_u32_e32 v2, v2, v12
	v_ldexp_f32 v8, v8, v10
	v_ldexp_f32 v9, v9, v11
	v_cndmask_b32_e32 v8, 0, v8, vcc_lo
	v_cmp_ngt_f32_e32 vcc_lo, 0xc2ce8ed0, v3
	v_cndmask_b32_e32 v9, 0, v9, vcc_lo
	v_cmp_nlt_f32_e32 vcc_lo, 0x42b17218, v7
	v_cndmask_b32_e32 v8, 0x7f800000, v8, vcc_lo
	v_cmp_nlt_f32_e32 vcc_lo, 0x42b17218, v3
	v_lshlrev_b32_e32 v3, 3, v2
	v_cndmask_b32_e32 v9, 0x7f800000, v9, vcc_lo
	v_add_f32_e32 v7, v8, v9
	v_cmpx_gt_u32_e64 s2, v3
	s_cbranch_execz .LBB3_3
; %bb.2:
	s_load_dwordx2 s[10:11], s[4:5], 0x10
	v_mul_lo_u32 v4, v4, s2
	s_load_dwordx4 s[4:7], s[4:5], 0x0
	v_mov_b32_e32 v3, v5
	v_div_scale_f32 v20, null, v7, v7, v8
	v_lshlrev_b64 v[18:19], 4, v[2:3]
	v_lshlrev_b64 v[4:5], 1, v[4:5]
	v_rcp_f32_e32 v22, v20
	v_fma_f32 v24, -v20, v22, 1.0
	s_waitcnt lgkmcnt(0)
	v_add_co_u32 v3, vcc_lo, s10, v4
	v_add_co_ci_u32_e64 v11, null, s11, v5, vcc_lo
	v_fmac_f32_e32 v22, v24, v22
	v_add_co_u32 v10, vcc_lo, v3, v18
	v_add_co_ci_u32_e64 v11, null, v11, v19, vcc_lo
	v_add_co_u32 v3, vcc_lo, s6, v4
	v_add_co_ci_u32_e64 v15, null, s7, v5, vcc_lo
	global_load_dwordx4 v[10:13], v[10:11], off
	v_add_co_u32 v14, vcc_lo, v3, v18
	v_add_co_ci_u32_e64 v15, null, v15, v19, vcc_lo
	v_div_scale_f32 v3, null, v7, v7, v9
	v_div_scale_f32 v25, vcc_lo, v9, v7, v9
	global_load_dwordx4 v[14:17], v[14:15], off
	v_rcp_f32_e32 v21, v3
	v_fma_f32 v23, -v3, v21, 1.0
	v_fmac_f32_e32 v21, v23, v21
	v_div_scale_f32 v23, s0, v8, v7, v8
	v_mul_f32_e32 v24, v25, v21
	v_mul_f32_e32 v26, v23, v22
	v_fma_f32 v27, -v3, v24, v25
	v_fma_f32 v28, -v20, v26, v23
	v_fmac_f32_e32 v24, v27, v21
	v_fmac_f32_e32 v26, v28, v22
	v_fma_f32 v3, -v3, v24, v25
	v_fma_f32 v20, -v20, v26, v23
	v_div_fmas_f32 v3, v3, v21, v24
	s_mov_b32 vcc_lo, s0
	v_div_fmas_f32 v20, v20, v22, v26
	v_add_co_u32 v4, vcc_lo, s4, v4
	v_div_fixup_f32 v3, v3, v7, v9
	v_add_co_ci_u32_e64 v5, null, s5, v5, vcc_lo
	v_div_fixup_f32 v20, v20, v7, v8
	s_waitcnt vmcnt(1)
	v_cvt_f32_f16_e32 v8, v10
	v_cvt_f32_f16_sdwa v9, v10 dst_sel:DWORD dst_unused:UNUSED_PAD src0_sel:WORD_1
	v_cvt_f32_f16_e32 v10, v11
	v_cvt_f32_f16_sdwa v11, v11 dst_sel:DWORD dst_unused:UNUSED_PAD src0_sel:WORD_1
	v_cvt_f32_f16_e32 v21, v12
	v_cvt_f32_f16_e32 v22, v13
	v_cvt_f32_f16_sdwa v12, v12 dst_sel:DWORD dst_unused:UNUSED_PAD src0_sel:WORD_1
	v_cvt_f32_f16_sdwa v13, v13 dst_sel:DWORD dst_unused:UNUSED_PAD src0_sel:WORD_1
	v_mul_f32_e32 v8, v3, v8
	v_mul_f32_e32 v23, v3, v9
	;; [unrolled: 1-line block ×8, first 2 shown]
	s_waitcnt vmcnt(0)
	v_fma_mixlo_f16 v8, v20, v14, v8 op_sel_hi:[0,1,0]
	v_fma_mixlo_f16 v9, v20, v15, v9 op_sel_hi:[0,1,0]
	v_fma_mixlo_f16 v10, v20, v16, v10 op_sel_hi:[0,1,0]
	v_fma_mixlo_f16 v11, v20, v17, v11 op_sel_hi:[0,1,0]
	v_add_co_u32 v3, vcc_lo, v4, v18
	v_add_co_ci_u32_e64 v4, null, v5, v19, vcc_lo
	v_fma_mixhi_f16 v11, v20, v17, v13 op_sel:[0,1,0] op_sel_hi:[0,1,0]
	v_fma_mixhi_f16 v10, v20, v16, v12 op_sel:[0,1,0] op_sel_hi:[0,1,0]
	v_fma_mixhi_f16 v9, v20, v15, v24 op_sel:[0,1,0] op_sel_hi:[0,1,0]
	v_fma_mixhi_f16 v8, v20, v14, v23 op_sel:[0,1,0] op_sel_hi:[0,1,0]
	global_store_dwordx4 v[3:4], v[8:11], off
.LBB3_3:
	s_or_b32 exec_lo, exec_lo, s1
	v_cmp_eq_u32_e32 vcc_lo, 0, v2
	s_cmp_lg_u64 s[8:9], 0
	s_cselect_b32 s0, -1, 0
	s_and_b32 s0, s0, vcc_lo
	s_and_b32 exec_lo, exec_lo, s0
	s_cbranch_execz .LBB3_5
; %bb.4:
	v_cmp_gt_f32_e32 vcc_lo, 0x800000, v7
	v_cndmask_b32_e64 v2, 0, 32, vcc_lo
	v_ldexp_f32 v2, v7, v2
	v_log_f32_e32 v2, v2
	v_mul_f32_e32 v3, 0x3f317217, v2
	v_cmp_gt_f32_e64 s0, 0x7f800000, |v2|
	v_fma_f32 v3, 0x3f317217, v2, -v3
	v_fmamk_f32 v3, v2, 0x3377d1cf, v3
	v_fmac_f32_e32 v3, 0x3f317217, v2
	v_cndmask_b32_e64 v2, v2, v3, s0
	v_cndmask_b32_e64 v3, 0, 0x41b17218, vcc_lo
	v_add_co_u32 v0, vcc_lo, s8, v0
	v_add_co_ci_u32_e64 v1, null, s9, v1, vcc_lo
	v_sub_f32_e32 v2, v2, v3
	v_add_f32_e32 v2, v6, v2
	global_store_dword v[0:1], v2, off
.LBB3_5:
	s_endpgm
	.section	.rodata,"a",@progbits
	.p2align	6, 0x0
	.amdhsa_kernel _Z24merge_attn_states_kernelI6__halfLj128EEvPT_PKS1_S4_PfPKfS7_jjj
		.amdhsa_group_segment_fixed_size 0
		.amdhsa_private_segment_fixed_size 0
		.amdhsa_kernarg_size 60
		.amdhsa_user_sgpr_count 6
		.amdhsa_user_sgpr_private_segment_buffer 1
		.amdhsa_user_sgpr_dispatch_ptr 0
		.amdhsa_user_sgpr_queue_ptr 0
		.amdhsa_user_sgpr_kernarg_segment_ptr 1
		.amdhsa_user_sgpr_dispatch_id 0
		.amdhsa_user_sgpr_flat_scratch_init 0
		.amdhsa_user_sgpr_private_segment_size 0
		.amdhsa_wavefront_size32 1
		.amdhsa_uses_dynamic_stack 0
		.amdhsa_system_sgpr_private_segment_wavefront_offset 0
		.amdhsa_system_sgpr_workgroup_id_x 1
		.amdhsa_system_sgpr_workgroup_id_y 0
		.amdhsa_system_sgpr_workgroup_id_z 0
		.amdhsa_system_sgpr_workgroup_info 0
		.amdhsa_system_vgpr_workitem_id 0
		.amdhsa_next_free_vgpr 29
		.amdhsa_next_free_sgpr 12
		.amdhsa_reserve_vcc 1
		.amdhsa_reserve_flat_scratch 0
		.amdhsa_float_round_mode_32 0
		.amdhsa_float_round_mode_16_64 0
		.amdhsa_float_denorm_mode_32 3
		.amdhsa_float_denorm_mode_16_64 3
		.amdhsa_dx10_clamp 1
		.amdhsa_ieee_mode 1
		.amdhsa_fp16_overflow 0
		.amdhsa_workgroup_processor_mode 1
		.amdhsa_memory_ordered 1
		.amdhsa_forward_progress 1
		.amdhsa_shared_vgpr_count 0
		.amdhsa_exception_fp_ieee_invalid_op 0
		.amdhsa_exception_fp_denorm_src 0
		.amdhsa_exception_fp_ieee_div_zero 0
		.amdhsa_exception_fp_ieee_overflow 0
		.amdhsa_exception_fp_ieee_underflow 0
		.amdhsa_exception_fp_ieee_inexact 0
		.amdhsa_exception_int_div_zero 0
	.end_amdhsa_kernel
	.section	.text._Z24merge_attn_states_kernelI6__halfLj128EEvPT_PKS1_S4_PfPKfS7_jjj,"axG",@progbits,_Z24merge_attn_states_kernelI6__halfLj128EEvPT_PKS1_S4_PfPKfS7_jjj,comdat
.Lfunc_end3:
	.size	_Z24merge_attn_states_kernelI6__halfLj128EEvPT_PKS1_S4_PfPKfS7_jjj, .Lfunc_end3-_Z24merge_attn_states_kernelI6__halfLj128EEvPT_PKS1_S4_PfPKfS7_jjj
                                        ; -- End function
	.set _Z24merge_attn_states_kernelI6__halfLj128EEvPT_PKS1_S4_PfPKfS7_jjj.num_vgpr, 29
	.set _Z24merge_attn_states_kernelI6__halfLj128EEvPT_PKS1_S4_PfPKfS7_jjj.num_agpr, 0
	.set _Z24merge_attn_states_kernelI6__halfLj128EEvPT_PKS1_S4_PfPKfS7_jjj.numbered_sgpr, 12
	.set _Z24merge_attn_states_kernelI6__halfLj128EEvPT_PKS1_S4_PfPKfS7_jjj.num_named_barrier, 0
	.set _Z24merge_attn_states_kernelI6__halfLj128EEvPT_PKS1_S4_PfPKfS7_jjj.private_seg_size, 0
	.set _Z24merge_attn_states_kernelI6__halfLj128EEvPT_PKS1_S4_PfPKfS7_jjj.uses_vcc, 1
	.set _Z24merge_attn_states_kernelI6__halfLj128EEvPT_PKS1_S4_PfPKfS7_jjj.uses_flat_scratch, 0
	.set _Z24merge_attn_states_kernelI6__halfLj128EEvPT_PKS1_S4_PfPKfS7_jjj.has_dyn_sized_stack, 0
	.set _Z24merge_attn_states_kernelI6__halfLj128EEvPT_PKS1_S4_PfPKfS7_jjj.has_recursion, 0
	.set _Z24merge_attn_states_kernelI6__halfLj128EEvPT_PKS1_S4_PfPKfS7_jjj.has_indirect_call, 0
	.section	.AMDGPU.csdata,"",@progbits
; Kernel info:
; codeLenInByte = 1124
; TotalNumSgprs: 14
; NumVgprs: 29
; ScratchSize: 0
; MemoryBound: 0
; FloatMode: 240
; IeeeMode: 1
; LDSByteSize: 0 bytes/workgroup (compile time only)
; SGPRBlocks: 0
; VGPRBlocks: 3
; NumSGPRsForWavesPerEU: 14
; NumVGPRsForWavesPerEU: 29
; Occupancy: 16
; WaveLimiterHint : 0
; COMPUTE_PGM_RSRC2:SCRATCH_EN: 0
; COMPUTE_PGM_RSRC2:USER_SGPR: 6
; COMPUTE_PGM_RSRC2:TRAP_HANDLER: 0
; COMPUTE_PGM_RSRC2:TGID_X_EN: 1
; COMPUTE_PGM_RSRC2:TGID_Y_EN: 0
; COMPUTE_PGM_RSRC2:TGID_Z_EN: 0
; COMPUTE_PGM_RSRC2:TIDIG_COMP_CNT: 0
	.section	.text._Z19uniform_fill_kernelI14__hip_bfloat16EvPT_mffj,"axG",@progbits,_Z19uniform_fill_kernelI14__hip_bfloat16EvPT_mffj,comdat
	.protected	_Z19uniform_fill_kernelI14__hip_bfloat16EvPT_mffj ; -- Begin function _Z19uniform_fill_kernelI14__hip_bfloat16EvPT_mffj
	.globl	_Z19uniform_fill_kernelI14__hip_bfloat16EvPT_mffj
	.p2align	8
	.type	_Z19uniform_fill_kernelI14__hip_bfloat16EvPT_mffj,@function
_Z19uniform_fill_kernelI14__hip_bfloat16EvPT_mffj: ; @_Z19uniform_fill_kernelI14__hip_bfloat16EvPT_mffj
; %bb.0:
	s_clause 0x1
	s_load_dword s7, s[4:5], 0x2c
	s_load_dwordx4 s[0:3], s[4:5], 0x0
	v_mov_b32_e32 v1, 0
	s_waitcnt lgkmcnt(0)
	s_and_b32 s7, s7, 0xffff
	v_mad_u64_u32 v[0:1], null, s7, s6, v[0:1]
	v_cmp_gt_u64_e32 vcc_lo, s[2:3], v[0:1]
	s_and_saveexec_b32 s2, vcc_lo
	s_cbranch_execz .LBB4_2
; %bb.1:
	s_load_dwordx4 s[4:7], s[4:5], 0x10
	s_waitcnt lgkmcnt(0)
	v_xor_b32_e32 v2, s6, v0
	v_lshlrev_b64 v[0:1], 1, v[0:1]
	v_lshlrev_b32_e32 v3, 13, v2
	v_xor_b32_e32 v2, v3, v2
	v_lshrrev_b32_e32 v3, 17, v2
	v_xor_b32_e32 v2, v3, v2
	v_lshlrev_b32_e32 v3, 5, v2
	v_xor_b32_e32 v2, v3, v2
	v_sub_f32_e64 v3, s5, s4
	v_lshrrev_b32_e32 v2, 8, v2
	v_cvt_f32_u32_e32 v2, v2
	v_mul_f32_e32 v2, 0x33800000, v2
	v_fma_f32 v2, v3, v2, s4
	v_bfe_u32 v3, v2, 16, 1
	v_or_b32_e32 v4, 0x400000, v2
	v_cmp_u_f32_e32 vcc_lo, v2, v2
	v_add3_u32 v3, v3, v2, 0x7fff
	v_cndmask_b32_e32 v2, v3, v4, vcc_lo
	v_add_co_u32 v0, vcc_lo, s0, v0
	v_add_co_ci_u32_e64 v1, null, s1, v1, vcc_lo
	global_store_short_d16_hi v[0:1], v2, off
.LBB4_2:
	s_endpgm
	.section	.rodata,"a",@progbits
	.p2align	6, 0x0
	.amdhsa_kernel _Z19uniform_fill_kernelI14__hip_bfloat16EvPT_mffj
		.amdhsa_group_segment_fixed_size 0
		.amdhsa_private_segment_fixed_size 0
		.amdhsa_kernarg_size 288
		.amdhsa_user_sgpr_count 6
		.amdhsa_user_sgpr_private_segment_buffer 1
		.amdhsa_user_sgpr_dispatch_ptr 0
		.amdhsa_user_sgpr_queue_ptr 0
		.amdhsa_user_sgpr_kernarg_segment_ptr 1
		.amdhsa_user_sgpr_dispatch_id 0
		.amdhsa_user_sgpr_flat_scratch_init 0
		.amdhsa_user_sgpr_private_segment_size 0
		.amdhsa_wavefront_size32 1
		.amdhsa_uses_dynamic_stack 0
		.amdhsa_system_sgpr_private_segment_wavefront_offset 0
		.amdhsa_system_sgpr_workgroup_id_x 1
		.amdhsa_system_sgpr_workgroup_id_y 0
		.amdhsa_system_sgpr_workgroup_id_z 0
		.amdhsa_system_sgpr_workgroup_info 0
		.amdhsa_system_vgpr_workitem_id 0
		.amdhsa_next_free_vgpr 5
		.amdhsa_next_free_sgpr 8
		.amdhsa_reserve_vcc 1
		.amdhsa_reserve_flat_scratch 0
		.amdhsa_float_round_mode_32 0
		.amdhsa_float_round_mode_16_64 0
		.amdhsa_float_denorm_mode_32 3
		.amdhsa_float_denorm_mode_16_64 3
		.amdhsa_dx10_clamp 1
		.amdhsa_ieee_mode 1
		.amdhsa_fp16_overflow 0
		.amdhsa_workgroup_processor_mode 1
		.amdhsa_memory_ordered 1
		.amdhsa_forward_progress 1
		.amdhsa_shared_vgpr_count 0
		.amdhsa_exception_fp_ieee_invalid_op 0
		.amdhsa_exception_fp_denorm_src 0
		.amdhsa_exception_fp_ieee_div_zero 0
		.amdhsa_exception_fp_ieee_overflow 0
		.amdhsa_exception_fp_ieee_underflow 0
		.amdhsa_exception_fp_ieee_inexact 0
		.amdhsa_exception_int_div_zero 0
	.end_amdhsa_kernel
	.section	.text._Z19uniform_fill_kernelI14__hip_bfloat16EvPT_mffj,"axG",@progbits,_Z19uniform_fill_kernelI14__hip_bfloat16EvPT_mffj,comdat
.Lfunc_end4:
	.size	_Z19uniform_fill_kernelI14__hip_bfloat16EvPT_mffj, .Lfunc_end4-_Z19uniform_fill_kernelI14__hip_bfloat16EvPT_mffj
                                        ; -- End function
	.set _Z19uniform_fill_kernelI14__hip_bfloat16EvPT_mffj.num_vgpr, 5
	.set _Z19uniform_fill_kernelI14__hip_bfloat16EvPT_mffj.num_agpr, 0
	.set _Z19uniform_fill_kernelI14__hip_bfloat16EvPT_mffj.numbered_sgpr, 8
	.set _Z19uniform_fill_kernelI14__hip_bfloat16EvPT_mffj.num_named_barrier, 0
	.set _Z19uniform_fill_kernelI14__hip_bfloat16EvPT_mffj.private_seg_size, 0
	.set _Z19uniform_fill_kernelI14__hip_bfloat16EvPT_mffj.uses_vcc, 1
	.set _Z19uniform_fill_kernelI14__hip_bfloat16EvPT_mffj.uses_flat_scratch, 0
	.set _Z19uniform_fill_kernelI14__hip_bfloat16EvPT_mffj.has_dyn_sized_stack, 0
	.set _Z19uniform_fill_kernelI14__hip_bfloat16EvPT_mffj.has_recursion, 0
	.set _Z19uniform_fill_kernelI14__hip_bfloat16EvPT_mffj.has_indirect_call, 0
	.section	.AMDGPU.csdata,"",@progbits
; Kernel info:
; codeLenInByte = 200
; TotalNumSgprs: 10
; NumVgprs: 5
; ScratchSize: 0
; MemoryBound: 0
; FloatMode: 240
; IeeeMode: 1
; LDSByteSize: 0 bytes/workgroup (compile time only)
; SGPRBlocks: 0
; VGPRBlocks: 0
; NumSGPRsForWavesPerEU: 10
; NumVGPRsForWavesPerEU: 5
; Occupancy: 16
; WaveLimiterHint : 0
; COMPUTE_PGM_RSRC2:SCRATCH_EN: 0
; COMPUTE_PGM_RSRC2:USER_SGPR: 6
; COMPUTE_PGM_RSRC2:TRAP_HANDLER: 0
; COMPUTE_PGM_RSRC2:TGID_X_EN: 1
; COMPUTE_PGM_RSRC2:TGID_Y_EN: 0
; COMPUTE_PGM_RSRC2:TGID_Z_EN: 0
; COMPUTE_PGM_RSRC2:TIDIG_COMP_CNT: 0
	.section	.text._Z24merge_attn_states_kernelI14__hip_bfloat16Lj128EEvPT_PKS1_S4_PfPKfS7_jjj,"axG",@progbits,_Z24merge_attn_states_kernelI14__hip_bfloat16Lj128EEvPT_PKS1_S4_PfPKfS7_jjj,comdat
	.protected	_Z24merge_attn_states_kernelI14__hip_bfloat16Lj128EEvPT_PKS1_S4_PfPKfS7_jjj ; -- Begin function _Z24merge_attn_states_kernelI14__hip_bfloat16Lj128EEvPT_PKS1_S4_PfPKfS7_jjj
	.globl	_Z24merge_attn_states_kernelI14__hip_bfloat16Lj128EEvPT_PKS1_S4_PfPKfS7_jjj
	.p2align	8
	.type	_Z24merge_attn_states_kernelI14__hip_bfloat16Lj128EEvPT_PKS1_S4_PfPKfS7_jjj,@function
_Z24merge_attn_states_kernelI14__hip_bfloat16Lj128EEvPT_PKS1_S4_PfPKfS7_jjj: ; @_Z24merge_attn_states_kernelI14__hip_bfloat16Lj128EEvPT_PKS1_S4_PfPKfS7_jjj
; %bb.0:
	s_load_dwordx4 s[0:3], s[4:5], 0x30
	v_lshl_add_u32 v2, s6, 7, v0
	s_waitcnt lgkmcnt(0)
	s_lshr_b32 s3, s2, 3
	s_mul_i32 s0, s1, s0
	s_mul_i32 s0, s0, s3
	v_cmp_gt_u32_e32 vcc_lo, s0, v2
	s_and_saveexec_b32 s0, vcc_lo
	s_cbranch_execz .LBB5_5
; %bb.1:
	v_cvt_f32_u32_e32 v0, s3
	s_sub_i32 s0, 0, s3
	v_mov_b32_e32 v5, 0
	v_rcp_iflag_f32_e32 v0, v0
	v_mul_f32_e32 v0, 0x4f7ffffe, v0
	v_cvt_u32_f32_e32 v0, v0
	v_mul_lo_u32 v1, s0, v0
	s_clause 0x1
	s_load_dwordx2 s[0:1], s[4:5], 0x28
	s_load_dwordx4 s[8:11], s[4:5], 0x18
	v_mul_hi_u32 v1, v0, v1
	v_add_nc_u32_e32 v0, v0, v1
	v_mul_hi_u32 v0, v2, v0
	v_mul_lo_u32 v1, v0, s3
	v_add_nc_u32_e32 v3, 1, v0
	v_sub_nc_u32_e32 v1, v2, v1
	v_subrev_nc_u32_e32 v4, s3, v1
	v_cmp_le_u32_e32 vcc_lo, s3, v1
	v_cndmask_b32_e32 v0, v0, v3, vcc_lo
	v_cndmask_b32_e32 v1, v1, v4, vcc_lo
	v_add_nc_u32_e32 v3, 1, v0
	v_cmp_le_u32_e32 vcc_lo, s3, v1
	v_cndmask_b32_e32 v4, v0, v3, vcc_lo
	v_lshlrev_b64 v[0:1], 2, v[4:5]
	s_waitcnt lgkmcnt(0)
	v_add_co_u32 v6, vcc_lo, s0, v0
	v_add_co_ci_u32_e64 v7, null, s1, v1, vcc_lo
	v_add_co_u32 v8, vcc_lo, s10, v0
	v_add_co_ci_u32_e64 v9, null, s11, v1, vcc_lo
	global_load_dword v3, v[6:7], off
	global_load_dword v6, v[8:9], off
	s_mov_b32 s1, exec_lo
	s_waitcnt vmcnt(1)
	v_cmp_neq_f32_e64 vcc_lo, 0x7f800000, |v3|
	v_cndmask_b32_e32 v3, 0xff800000, v3, vcc_lo
	s_waitcnt vmcnt(0)
	v_cmp_neq_f32_e64 vcc_lo, 0x7f800000, |v6|
	v_cndmask_b32_e32 v7, 0xff800000, v6, vcc_lo
	v_max_f32_e32 v6, v3, v3
	v_max_f32_e32 v8, v7, v7
	;; [unrolled: 1-line block ×3, first 2 shown]
	v_sub_f32_e32 v7, v7, v6
	v_sub_f32_e32 v3, v3, v6
	v_mul_f32_e32 v8, 0x3fb8aa3b, v7
	v_mul_f32_e32 v9, 0x3fb8aa3b, v3
	v_cmp_ngt_f32_e32 vcc_lo, 0xc2ce8ed0, v7
	v_fma_f32 v10, 0x3fb8aa3b, v7, -v8
	v_rndne_f32_e32 v11, v8
	v_fma_f32 v12, 0x3fb8aa3b, v3, -v9
	v_rndne_f32_e32 v13, v9
	v_fmac_f32_e32 v10, 0x32a5705f, v7
	v_sub_f32_e32 v8, v8, v11
	v_fmac_f32_e32 v12, 0x32a5705f, v3
	v_sub_f32_e32 v9, v9, v13
	v_add_f32_e32 v8, v8, v10
	v_cvt_i32_f32_e32 v10, v11
	v_add_f32_e32 v9, v9, v12
	v_cvt_i32_f32_e32 v11, v13
	v_mul_lo_u32 v12, v4, s3
	v_exp_f32_e32 v8, v8
	v_exp_f32_e32 v9, v9
	v_sub_nc_u32_e32 v2, v2, v12
	v_ldexp_f32 v8, v8, v10
	v_ldexp_f32 v9, v9, v11
	v_cndmask_b32_e32 v8, 0, v8, vcc_lo
	v_cmp_ngt_f32_e32 vcc_lo, 0xc2ce8ed0, v3
	v_cndmask_b32_e32 v9, 0, v9, vcc_lo
	v_cmp_nlt_f32_e32 vcc_lo, 0x42b17218, v7
	v_cndmask_b32_e32 v8, 0x7f800000, v8, vcc_lo
	v_cmp_nlt_f32_e32 vcc_lo, 0x42b17218, v3
	v_lshlrev_b32_e32 v3, 3, v2
	v_cndmask_b32_e32 v9, 0x7f800000, v9, vcc_lo
	v_add_f32_e32 v7, v8, v9
	v_cmpx_gt_u32_e64 s2, v3
	s_cbranch_execz .LBB5_3
; %bb.2:
	s_clause 0x1
	s_load_dwordx4 s[12:15], s[4:5], 0x0
	s_load_dwordx2 s[4:5], s[4:5], 0x10
	v_mul_lo_u32 v4, v4, s2
	v_mov_b32_e32 v3, v5
	v_div_scale_f32 v20, null, v7, v7, v8
	v_lshlrev_b64 v[18:19], 4, v[2:3]
	v_rcp_f32_e32 v22, v20
	v_lshlrev_b64 v[4:5], 1, v[4:5]
	v_fma_f32 v24, -v20, v22, 1.0
	s_waitcnt lgkmcnt(0)
	v_add_co_u32 v3, vcc_lo, s14, v4
	v_add_co_ci_u32_e64 v11, null, s15, v5, vcc_lo
	v_add_co_u32 v12, vcc_lo, s4, v4
	v_add_co_ci_u32_e64 v13, null, s5, v5, vcc_lo
	;; [unrolled: 2-line block ×4, first 2 shown]
	global_load_dwordx4 v[10:13], v[10:11], off
	global_load_dwordx4 v[14:17], v[14:15], off
	v_div_scale_f32 v3, null, v7, v7, v9
	v_div_scale_f32 v25, vcc_lo, v9, v7, v9
	v_fmac_f32_e32 v22, v24, v22
	v_rcp_f32_e32 v21, v3
	v_fma_f32 v23, -v3, v21, 1.0
	v_fmac_f32_e32 v21, v23, v21
	v_div_scale_f32 v23, s0, v8, v7, v8
	v_mul_f32_e32 v24, v25, v21
	v_mul_f32_e32 v26, v23, v22
	v_fma_f32 v27, -v3, v24, v25
	v_fma_f32 v28, -v20, v26, v23
	v_fmac_f32_e32 v24, v27, v21
	v_fmac_f32_e32 v26, v28, v22
	v_fma_f32 v3, -v3, v24, v25
	v_fma_f32 v20, -v20, v26, v23
	v_div_fmas_f32 v3, v3, v21, v24
	s_mov_b32 vcc_lo, s0
	v_div_fmas_f32 v20, v20, v22, v26
	v_add_co_u32 v4, vcc_lo, s12, v4
	v_div_fixup_f32 v3, v3, v7, v9
	v_add_co_ci_u32_e64 v5, null, s13, v5, vcc_lo
	v_div_fixup_f32 v8, v20, v7, v8
	s_waitcnt vmcnt(1)
	v_lshlrev_b32_e32 v9, 16, v10
	s_waitcnt vmcnt(0)
	v_lshlrev_b32_e32 v20, 16, v14
	v_and_b32_e32 v14, 0xffff0000, v14
	v_lshlrev_b32_e32 v22, 16, v15
	v_and_b32_e32 v15, 0xffff0000, v15
	;; [unrolled: 2-line block ×4, first 2 shown]
	v_mul_f32_e32 v20, v3, v20
	v_and_b32_e32 v10, 0xffff0000, v10
	v_lshlrev_b32_e32 v21, 16, v11
	v_and_b32_e32 v11, 0xffff0000, v11
	v_lshlrev_b32_e32 v23, 16, v12
	;; [unrolled: 2-line block ×3, first 2 shown]
	v_and_b32_e32 v13, 0xffff0000, v13
	v_mul_f32_e32 v14, v3, v14
	v_mul_f32_e32 v22, v3, v22
	;; [unrolled: 1-line block ×7, first 2 shown]
	v_fmac_f32_e32 v20, v8, v9
	v_fmac_f32_e32 v14, v8, v10
	;; [unrolled: 1-line block ×8, first 2 shown]
	v_bfe_u32 v8, v20, 16, 1
	v_or_b32_e32 v9, 0x400000, v20
	v_bfe_u32 v10, v14, 16, 1
	v_cmp_u_f32_e32 vcc_lo, v20, v20
	v_or_b32_e32 v11, 0x400000, v14
	v_add3_u32 v8, v8, v20, 0x7fff
	v_bfe_u32 v12, v22, 16, 1
	v_add3_u32 v10, v10, v14, 0x7fff
	v_or_b32_e32 v13, 0x400000, v22
	v_bfe_u32 v17, v15, 16, 1
	v_cndmask_b32_e32 v8, v8, v9, vcc_lo
	v_cmp_u_f32_e32 vcc_lo, v14, v14
	v_add3_u32 v12, v12, v22, 0x7fff
	v_or_b32_e32 v21, 0x400000, v15
	v_bfe_u32 v23, v24, 16, 1
	v_add3_u32 v17, v17, v15, 0x7fff
	v_cndmask_b32_e32 v14, v10, v11, vcc_lo
	v_cmp_u_f32_e32 vcc_lo, v22, v22
	v_or_b32_e32 v25, 0x400000, v24
	v_bfe_u32 v27, v16, 16, 1
	v_add3_u32 v23, v23, v24, 0x7fff
	v_or_b32_e32 v28, 0x400000, v16
	v_cndmask_b32_e32 v9, v12, v13, vcc_lo
	v_cmp_u_f32_e32 vcc_lo, v15, v15
	v_bfe_u32 v29, v26, 16, 1
	v_add3_u32 v27, v27, v16, 0x7fff
	v_or_b32_e32 v30, 0x400000, v26
	v_bfe_u32 v31, v3, 16, 1
	v_cndmask_b32_e32 v12, v17, v21, vcc_lo
	v_cmp_u_f32_e32 vcc_lo, v24, v24
	v_add3_u32 v29, v29, v26, 0x7fff
	v_or_b32_e32 v32, 0x400000, v3
	v_add3_u32 v31, v31, v3, 0x7fff
	v_perm_b32 v9, v12, v9, 0x7060302
	v_cndmask_b32_e32 v10, v23, v25, vcc_lo
	v_cmp_u_f32_e32 vcc_lo, v16, v16
	v_perm_b32 v8, v14, v8, 0x7060302
	v_cndmask_b32_e32 v13, v27, v28, vcc_lo
	v_cmp_u_f32_e32 vcc_lo, v26, v26
	;; [unrolled: 3-line block ×3, first 2 shown]
	v_cndmask_b32_e32 v15, v31, v32, vcc_lo
	v_add_co_u32 v3, vcc_lo, v4, v18
	v_add_co_ci_u32_e64 v4, null, v5, v19, vcc_lo
	v_perm_b32 v11, v15, v11, 0x7060302
	global_store_dwordx4 v[3:4], v[8:11], off
.LBB5_3:
	s_or_b32 exec_lo, exec_lo, s1
	v_cmp_eq_u32_e32 vcc_lo, 0, v2
	s_cmp_lg_u64 s[8:9], 0
	s_cselect_b32 s0, -1, 0
	s_and_b32 s0, s0, vcc_lo
	s_and_b32 exec_lo, exec_lo, s0
	s_cbranch_execz .LBB5_5
; %bb.4:
	v_cmp_gt_f32_e32 vcc_lo, 0x800000, v7
	v_cndmask_b32_e64 v2, 0, 32, vcc_lo
	v_ldexp_f32 v2, v7, v2
	v_log_f32_e32 v2, v2
	v_mul_f32_e32 v3, 0x3f317217, v2
	v_cmp_gt_f32_e64 s0, 0x7f800000, |v2|
	v_fma_f32 v3, 0x3f317217, v2, -v3
	v_fmamk_f32 v3, v2, 0x3377d1cf, v3
	v_fmac_f32_e32 v3, 0x3f317217, v2
	v_cndmask_b32_e64 v2, v2, v3, s0
	v_cndmask_b32_e64 v3, 0, 0x41b17218, vcc_lo
	v_add_co_u32 v0, vcc_lo, s8, v0
	v_add_co_ci_u32_e64 v1, null, s9, v1, vcc_lo
	v_sub_f32_e32 v2, v2, v3
	v_add_f32_e32 v2, v6, v2
	global_store_dword v[0:1], v2, off
.LBB5_5:
	s_endpgm
	.section	.rodata,"a",@progbits
	.p2align	6, 0x0
	.amdhsa_kernel _Z24merge_attn_states_kernelI14__hip_bfloat16Lj128EEvPT_PKS1_S4_PfPKfS7_jjj
		.amdhsa_group_segment_fixed_size 0
		.amdhsa_private_segment_fixed_size 0
		.amdhsa_kernarg_size 60
		.amdhsa_user_sgpr_count 6
		.amdhsa_user_sgpr_private_segment_buffer 1
		.amdhsa_user_sgpr_dispatch_ptr 0
		.amdhsa_user_sgpr_queue_ptr 0
		.amdhsa_user_sgpr_kernarg_segment_ptr 1
		.amdhsa_user_sgpr_dispatch_id 0
		.amdhsa_user_sgpr_flat_scratch_init 0
		.amdhsa_user_sgpr_private_segment_size 0
		.amdhsa_wavefront_size32 1
		.amdhsa_uses_dynamic_stack 0
		.amdhsa_system_sgpr_private_segment_wavefront_offset 0
		.amdhsa_system_sgpr_workgroup_id_x 1
		.amdhsa_system_sgpr_workgroup_id_y 0
		.amdhsa_system_sgpr_workgroup_id_z 0
		.amdhsa_system_sgpr_workgroup_info 0
		.amdhsa_system_vgpr_workitem_id 0
		.amdhsa_next_free_vgpr 33
		.amdhsa_next_free_sgpr 16
		.amdhsa_reserve_vcc 1
		.amdhsa_reserve_flat_scratch 0
		.amdhsa_float_round_mode_32 0
		.amdhsa_float_round_mode_16_64 0
		.amdhsa_float_denorm_mode_32 3
		.amdhsa_float_denorm_mode_16_64 3
		.amdhsa_dx10_clamp 1
		.amdhsa_ieee_mode 1
		.amdhsa_fp16_overflow 0
		.amdhsa_workgroup_processor_mode 1
		.amdhsa_memory_ordered 1
		.amdhsa_forward_progress 1
		.amdhsa_shared_vgpr_count 0
		.amdhsa_exception_fp_ieee_invalid_op 0
		.amdhsa_exception_fp_denorm_src 0
		.amdhsa_exception_fp_ieee_div_zero 0
		.amdhsa_exception_fp_ieee_overflow 0
		.amdhsa_exception_fp_ieee_underflow 0
		.amdhsa_exception_fp_ieee_inexact 0
		.amdhsa_exception_int_div_zero 0
	.end_amdhsa_kernel
	.section	.text._Z24merge_attn_states_kernelI14__hip_bfloat16Lj128EEvPT_PKS1_S4_PfPKfS7_jjj,"axG",@progbits,_Z24merge_attn_states_kernelI14__hip_bfloat16Lj128EEvPT_PKS1_S4_PfPKfS7_jjj,comdat
.Lfunc_end5:
	.size	_Z24merge_attn_states_kernelI14__hip_bfloat16Lj128EEvPT_PKS1_S4_PfPKfS7_jjj, .Lfunc_end5-_Z24merge_attn_states_kernelI14__hip_bfloat16Lj128EEvPT_PKS1_S4_PfPKfS7_jjj
                                        ; -- End function
	.set _Z24merge_attn_states_kernelI14__hip_bfloat16Lj128EEvPT_PKS1_S4_PfPKfS7_jjj.num_vgpr, 33
	.set _Z24merge_attn_states_kernelI14__hip_bfloat16Lj128EEvPT_PKS1_S4_PfPKfS7_jjj.num_agpr, 0
	.set _Z24merge_attn_states_kernelI14__hip_bfloat16Lj128EEvPT_PKS1_S4_PfPKfS7_jjj.numbered_sgpr, 16
	.set _Z24merge_attn_states_kernelI14__hip_bfloat16Lj128EEvPT_PKS1_S4_PfPKfS7_jjj.num_named_barrier, 0
	.set _Z24merge_attn_states_kernelI14__hip_bfloat16Lj128EEvPT_PKS1_S4_PfPKfS7_jjj.private_seg_size, 0
	.set _Z24merge_attn_states_kernelI14__hip_bfloat16Lj128EEvPT_PKS1_S4_PfPKfS7_jjj.uses_vcc, 1
	.set _Z24merge_attn_states_kernelI14__hip_bfloat16Lj128EEvPT_PKS1_S4_PfPKfS7_jjj.uses_flat_scratch, 0
	.set _Z24merge_attn_states_kernelI14__hip_bfloat16Lj128EEvPT_PKS1_S4_PfPKfS7_jjj.has_dyn_sized_stack, 0
	.set _Z24merge_attn_states_kernelI14__hip_bfloat16Lj128EEvPT_PKS1_S4_PfPKfS7_jjj.has_recursion, 0
	.set _Z24merge_attn_states_kernelI14__hip_bfloat16Lj128EEvPT_PKS1_S4_PfPKfS7_jjj.has_indirect_call, 0
	.section	.AMDGPU.csdata,"",@progbits
; Kernel info:
; codeLenInByte = 1480
; TotalNumSgprs: 18
; NumVgprs: 33
; ScratchSize: 0
; MemoryBound: 0
; FloatMode: 240
; IeeeMode: 1
; LDSByteSize: 0 bytes/workgroup (compile time only)
; SGPRBlocks: 0
; VGPRBlocks: 4
; NumSGPRsForWavesPerEU: 18
; NumVGPRsForWavesPerEU: 33
; Occupancy: 16
; WaveLimiterHint : 0
; COMPUTE_PGM_RSRC2:SCRATCH_EN: 0
; COMPUTE_PGM_RSRC2:USER_SGPR: 6
; COMPUTE_PGM_RSRC2:TRAP_HANDLER: 0
; COMPUTE_PGM_RSRC2:TGID_X_EN: 1
; COMPUTE_PGM_RSRC2:TGID_Y_EN: 0
; COMPUTE_PGM_RSRC2:TGID_Z_EN: 0
; COMPUTE_PGM_RSRC2:TIDIG_COMP_CNT: 0
	.section	.AMDGPU.gpr_maximums,"",@progbits
	.set amdgpu.max_num_vgpr, 0
	.set amdgpu.max_num_agpr, 0
	.set amdgpu.max_num_sgpr, 0
	.section	.AMDGPU.csdata,"",@progbits
	.type	__hip_cuid_df21d3b5e148f035,@object ; @__hip_cuid_df21d3b5e148f035
	.section	.bss,"aw",@nobits
	.globl	__hip_cuid_df21d3b5e148f035
__hip_cuid_df21d3b5e148f035:
	.byte	0                               ; 0x0
	.size	__hip_cuid_df21d3b5e148f035, 1

	.ident	"AMD clang version 22.0.0git (https://github.com/RadeonOpenCompute/llvm-project roc-7.2.4 26084 f58b06dce1f9c15707c5f808fd002e18c2accf7e)"
	.section	".note.GNU-stack","",@progbits
	.addrsig
	.addrsig_sym __hip_cuid_df21d3b5e148f035
	.amdgpu_metadata
---
amdhsa.kernels:
  - .args:
      - .address_space:  global
        .offset:         0
        .size:           8
        .value_kind:     global_buffer
      - .offset:         8
        .size:           8
        .value_kind:     by_value
      - .offset:         16
        .size:           4
        .value_kind:     by_value
      - .offset:         20
        .size:           4
        .value_kind:     by_value
      - .offset:         24
        .size:           4
        .value_kind:     by_value
      - .offset:         32
        .size:           4
        .value_kind:     hidden_block_count_x
      - .offset:         36
        .size:           4
        .value_kind:     hidden_block_count_y
      - .offset:         40
        .size:           4
        .value_kind:     hidden_block_count_z
      - .offset:         44
        .size:           2
        .value_kind:     hidden_group_size_x
      - .offset:         46
        .size:           2
        .value_kind:     hidden_group_size_y
      - .offset:         48
        .size:           2
        .value_kind:     hidden_group_size_z
      - .offset:         50
        .size:           2
        .value_kind:     hidden_remainder_x
      - .offset:         52
        .size:           2
        .value_kind:     hidden_remainder_y
      - .offset:         54
        .size:           2
        .value_kind:     hidden_remainder_z
      - .offset:         72
        .size:           8
        .value_kind:     hidden_global_offset_x
      - .offset:         80
        .size:           8
        .value_kind:     hidden_global_offset_y
      - .offset:         88
        .size:           8
        .value_kind:     hidden_global_offset_z
      - .offset:         96
        .size:           2
        .value_kind:     hidden_grid_dims
    .group_segment_fixed_size: 0
    .kernarg_segment_align: 8
    .kernarg_segment_size: 288
    .language:       OpenCL C
    .language_version:
      - 2
      - 0
    .max_flat_workgroup_size: 1024
    .name:           _Z19uniform_fill_kernelIfEvPT_mffj
    .private_segment_fixed_size: 0
    .sgpr_count:     10
    .sgpr_spill_count: 0
    .symbol:         _Z19uniform_fill_kernelIfEvPT_mffj.kd
    .uniform_work_group_size: 1
    .uses_dynamic_stack: false
    .vgpr_count:     4
    .vgpr_spill_count: 0
    .wavefront_size: 32
    .workgroup_processor_mode: 1
  - .args:
      - .actual_access:  write_only
        .address_space:  global
        .offset:         0
        .size:           8
        .value_kind:     global_buffer
      - .actual_access:  read_only
        .address_space:  global
        .offset:         8
        .size:           8
        .value_kind:     global_buffer
      - .actual_access:  read_only
        .address_space:  global
        .offset:         16
        .size:           8
        .value_kind:     global_buffer
      - .actual_access:  write_only
        .address_space:  global
        .offset:         24
        .size:           8
        .value_kind:     global_buffer
      - .actual_access:  read_only
        .address_space:  global
        .offset:         32
        .size:           8
        .value_kind:     global_buffer
      - .actual_access:  read_only
        .address_space:  global
        .offset:         40
        .size:           8
        .value_kind:     global_buffer
      - .offset:         48
        .size:           4
        .value_kind:     by_value
      - .offset:         52
        .size:           4
        .value_kind:     by_value
      - .offset:         56
        .size:           4
        .value_kind:     by_value
    .group_segment_fixed_size: 0
    .kernarg_segment_align: 8
    .kernarg_segment_size: 60
    .language:       OpenCL C
    .language_version:
      - 2
      - 0
    .max_flat_workgroup_size: 1024
    .name:           _Z24merge_attn_states_kernelIfLj128EEvPT_PKS0_S3_PfPKfS6_jjj
    .private_segment_fixed_size: 0
    .sgpr_count:     14
    .sgpr_spill_count: 0
    .symbol:         _Z24merge_attn_states_kernelIfLj128EEvPT_PKS0_S3_PfPKfS6_jjj.kd
    .uniform_work_group_size: 1
    .uses_dynamic_stack: false
    .vgpr_count:     29
    .vgpr_spill_count: 0
    .wavefront_size: 32
    .workgroup_processor_mode: 1
  - .args:
      - .address_space:  global
        .offset:         0
        .size:           8
        .value_kind:     global_buffer
      - .offset:         8
        .size:           8
        .value_kind:     by_value
      - .offset:         16
        .size:           4
        .value_kind:     by_value
      - .offset:         20
        .size:           4
        .value_kind:     by_value
      - .offset:         24
        .size:           4
        .value_kind:     by_value
      - .offset:         32
        .size:           4
        .value_kind:     hidden_block_count_x
      - .offset:         36
        .size:           4
        .value_kind:     hidden_block_count_y
      - .offset:         40
        .size:           4
        .value_kind:     hidden_block_count_z
      - .offset:         44
        .size:           2
        .value_kind:     hidden_group_size_x
      - .offset:         46
        .size:           2
        .value_kind:     hidden_group_size_y
      - .offset:         48
        .size:           2
        .value_kind:     hidden_group_size_z
      - .offset:         50
        .size:           2
        .value_kind:     hidden_remainder_x
      - .offset:         52
        .size:           2
        .value_kind:     hidden_remainder_y
      - .offset:         54
        .size:           2
        .value_kind:     hidden_remainder_z
      - .offset:         72
        .size:           8
        .value_kind:     hidden_global_offset_x
      - .offset:         80
        .size:           8
        .value_kind:     hidden_global_offset_y
      - .offset:         88
        .size:           8
        .value_kind:     hidden_global_offset_z
      - .offset:         96
        .size:           2
        .value_kind:     hidden_grid_dims
    .group_segment_fixed_size: 0
    .kernarg_segment_align: 8
    .kernarg_segment_size: 288
    .language:       OpenCL C
    .language_version:
      - 2
      - 0
    .max_flat_workgroup_size: 1024
    .name:           _Z19uniform_fill_kernelI6__halfEvPT_mffj
    .private_segment_fixed_size: 0
    .sgpr_count:     10
    .sgpr_spill_count: 0
    .symbol:         _Z19uniform_fill_kernelI6__halfEvPT_mffj.kd
    .uniform_work_group_size: 1
    .uses_dynamic_stack: false
    .vgpr_count:     4
    .vgpr_spill_count: 0
    .wavefront_size: 32
    .workgroup_processor_mode: 1
  - .args:
      - .actual_access:  write_only
        .address_space:  global
        .offset:         0
        .size:           8
        .value_kind:     global_buffer
      - .actual_access:  read_only
        .address_space:  global
        .offset:         8
        .size:           8
        .value_kind:     global_buffer
      - .actual_access:  read_only
        .address_space:  global
        .offset:         16
        .size:           8
        .value_kind:     global_buffer
      - .actual_access:  write_only
        .address_space:  global
        .offset:         24
        .size:           8
        .value_kind:     global_buffer
      - .actual_access:  read_only
        .address_space:  global
        .offset:         32
        .size:           8
        .value_kind:     global_buffer
      - .actual_access:  read_only
        .address_space:  global
        .offset:         40
        .size:           8
        .value_kind:     global_buffer
      - .offset:         48
        .size:           4
        .value_kind:     by_value
      - .offset:         52
        .size:           4
        .value_kind:     by_value
      - .offset:         56
        .size:           4
        .value_kind:     by_value
    .group_segment_fixed_size: 0
    .kernarg_segment_align: 8
    .kernarg_segment_size: 60
    .language:       OpenCL C
    .language_version:
      - 2
      - 0
    .max_flat_workgroup_size: 1024
    .name:           _Z24merge_attn_states_kernelI6__halfLj128EEvPT_PKS1_S4_PfPKfS7_jjj
    .private_segment_fixed_size: 0
    .sgpr_count:     14
    .sgpr_spill_count: 0
    .symbol:         _Z24merge_attn_states_kernelI6__halfLj128EEvPT_PKS1_S4_PfPKfS7_jjj.kd
    .uniform_work_group_size: 1
    .uses_dynamic_stack: false
    .vgpr_count:     29
    .vgpr_spill_count: 0
    .wavefront_size: 32
    .workgroup_processor_mode: 1
  - .args:
      - .address_space:  global
        .offset:         0
        .size:           8
        .value_kind:     global_buffer
      - .offset:         8
        .size:           8
        .value_kind:     by_value
      - .offset:         16
        .size:           4
        .value_kind:     by_value
      - .offset:         20
        .size:           4
        .value_kind:     by_value
      - .offset:         24
        .size:           4
        .value_kind:     by_value
      - .offset:         32
        .size:           4
        .value_kind:     hidden_block_count_x
      - .offset:         36
        .size:           4
        .value_kind:     hidden_block_count_y
      - .offset:         40
        .size:           4
        .value_kind:     hidden_block_count_z
      - .offset:         44
        .size:           2
        .value_kind:     hidden_group_size_x
      - .offset:         46
        .size:           2
        .value_kind:     hidden_group_size_y
      - .offset:         48
        .size:           2
        .value_kind:     hidden_group_size_z
      - .offset:         50
        .size:           2
        .value_kind:     hidden_remainder_x
      - .offset:         52
        .size:           2
        .value_kind:     hidden_remainder_y
      - .offset:         54
        .size:           2
        .value_kind:     hidden_remainder_z
      - .offset:         72
        .size:           8
        .value_kind:     hidden_global_offset_x
      - .offset:         80
        .size:           8
        .value_kind:     hidden_global_offset_y
      - .offset:         88
        .size:           8
        .value_kind:     hidden_global_offset_z
      - .offset:         96
        .size:           2
        .value_kind:     hidden_grid_dims
    .group_segment_fixed_size: 0
    .kernarg_segment_align: 8
    .kernarg_segment_size: 288
    .language:       OpenCL C
    .language_version:
      - 2
      - 0
    .max_flat_workgroup_size: 1024
    .name:           _Z19uniform_fill_kernelI14__hip_bfloat16EvPT_mffj
    .private_segment_fixed_size: 0
    .sgpr_count:     10
    .sgpr_spill_count: 0
    .symbol:         _Z19uniform_fill_kernelI14__hip_bfloat16EvPT_mffj.kd
    .uniform_work_group_size: 1
    .uses_dynamic_stack: false
    .vgpr_count:     5
    .vgpr_spill_count: 0
    .wavefront_size: 32
    .workgroup_processor_mode: 1
  - .args:
      - .actual_access:  write_only
        .address_space:  global
        .offset:         0
        .size:           8
        .value_kind:     global_buffer
      - .actual_access:  read_only
        .address_space:  global
        .offset:         8
        .size:           8
        .value_kind:     global_buffer
      - .actual_access:  read_only
        .address_space:  global
        .offset:         16
        .size:           8
        .value_kind:     global_buffer
      - .actual_access:  write_only
        .address_space:  global
        .offset:         24
        .size:           8
        .value_kind:     global_buffer
      - .actual_access:  read_only
        .address_space:  global
        .offset:         32
        .size:           8
        .value_kind:     global_buffer
      - .actual_access:  read_only
        .address_space:  global
        .offset:         40
        .size:           8
        .value_kind:     global_buffer
      - .offset:         48
        .size:           4
        .value_kind:     by_value
      - .offset:         52
        .size:           4
        .value_kind:     by_value
      - .offset:         56
        .size:           4
        .value_kind:     by_value
    .group_segment_fixed_size: 0
    .kernarg_segment_align: 8
    .kernarg_segment_size: 60
    .language:       OpenCL C
    .language_version:
      - 2
      - 0
    .max_flat_workgroup_size: 1024
    .name:           _Z24merge_attn_states_kernelI14__hip_bfloat16Lj128EEvPT_PKS1_S4_PfPKfS7_jjj
    .private_segment_fixed_size: 0
    .sgpr_count:     18
    .sgpr_spill_count: 0
    .symbol:         _Z24merge_attn_states_kernelI14__hip_bfloat16Lj128EEvPT_PKS1_S4_PfPKfS7_jjj.kd
    .uniform_work_group_size: 1
    .uses_dynamic_stack: false
    .vgpr_count:     33
    .vgpr_spill_count: 0
    .wavefront_size: 32
    .workgroup_processor_mode: 1
amdhsa.target:   amdgcn-amd-amdhsa--gfx1030
amdhsa.version:
  - 1
  - 2
...

	.end_amdgpu_metadata
